;; amdgpu-corpus repo=ROCm/rocFFT kind=compiled arch=gfx906 opt=O3
	.text
	.amdgcn_target "amdgcn-amd-amdhsa--gfx906"
	.amdhsa_code_object_version 6
	.protected	fft_rtc_back_len750_factors_10_5_3_5_wgs_250_tpt_250_halfLds_half_ip_CI_unitstride_sbrr_R2C_dirReg ; -- Begin function fft_rtc_back_len750_factors_10_5_3_5_wgs_250_tpt_250_halfLds_half_ip_CI_unitstride_sbrr_R2C_dirReg
	.globl	fft_rtc_back_len750_factors_10_5_3_5_wgs_250_tpt_250_halfLds_half_ip_CI_unitstride_sbrr_R2C_dirReg
	.p2align	8
	.type	fft_rtc_back_len750_factors_10_5_3_5_wgs_250_tpt_250_halfLds_half_ip_CI_unitstride_sbrr_R2C_dirReg,@function
fft_rtc_back_len750_factors_10_5_3_5_wgs_250_tpt_250_halfLds_half_ip_CI_unitstride_sbrr_R2C_dirReg: ; @fft_rtc_back_len750_factors_10_5_3_5_wgs_250_tpt_250_halfLds_half_ip_CI_unitstride_sbrr_R2C_dirReg
; %bb.0:
	s_load_dwordx2 s[2:3], s[4:5], 0x50
	s_load_dwordx4 s[8:11], s[4:5], 0x0
	s_load_dwordx2 s[12:13], s[4:5], 0x18
	v_mul_u32_u24_e32 v1, 0x107, v0
	v_add_u32_sdwa v5, s6, v1 dst_sel:DWORD dst_unused:UNUSED_PAD src0_sel:DWORD src1_sel:WORD_1
	v_mov_b32_e32 v3, 0
	s_waitcnt lgkmcnt(0)
	v_cmp_lt_u64_e64 s[0:1], s[10:11], 2
	v_mov_b32_e32 v1, 0
	v_mov_b32_e32 v6, v3
	s_and_b64 vcc, exec, s[0:1]
	v_mov_b32_e32 v2, 0
	s_cbranch_vccnz .LBB0_8
; %bb.1:
	s_load_dwordx2 s[0:1], s[4:5], 0x10
	s_add_u32 s6, s12, 8
	s_addc_u32 s7, s13, 0
	v_mov_b32_e32 v1, 0
	v_mov_b32_e32 v2, 0
	s_waitcnt lgkmcnt(0)
	s_add_u32 s14, s0, 8
	s_addc_u32 s15, s1, 0
	s_mov_b64 s[16:17], 1
.LBB0_2:                                ; =>This Inner Loop Header: Depth=1
	s_load_dwordx2 s[18:19], s[14:15], 0x0
                                        ; implicit-def: $vgpr7_vgpr8
	s_waitcnt lgkmcnt(0)
	v_or_b32_e32 v4, s19, v6
	v_cmp_ne_u64_e32 vcc, 0, v[3:4]
	s_and_saveexec_b64 s[0:1], vcc
	s_xor_b64 s[20:21], exec, s[0:1]
	s_cbranch_execz .LBB0_4
; %bb.3:                                ;   in Loop: Header=BB0_2 Depth=1
	v_cvt_f32_u32_e32 v4, s18
	v_cvt_f32_u32_e32 v7, s19
	s_sub_u32 s0, 0, s18
	s_subb_u32 s1, 0, s19
	v_mac_f32_e32 v4, 0x4f800000, v7
	v_rcp_f32_e32 v4, v4
	v_mul_f32_e32 v4, 0x5f7ffffc, v4
	v_mul_f32_e32 v7, 0x2f800000, v4
	v_trunc_f32_e32 v7, v7
	v_mac_f32_e32 v4, 0xcf800000, v7
	v_cvt_u32_f32_e32 v7, v7
	v_cvt_u32_f32_e32 v4, v4
	v_mul_lo_u32 v8, s0, v7
	v_mul_hi_u32 v9, s0, v4
	v_mul_lo_u32 v11, s1, v4
	v_mul_lo_u32 v10, s0, v4
	v_add_u32_e32 v8, v9, v8
	v_add_u32_e32 v8, v8, v11
	v_mul_hi_u32 v9, v4, v10
	v_mul_lo_u32 v11, v4, v8
	v_mul_hi_u32 v13, v4, v8
	v_mul_hi_u32 v12, v7, v10
	v_mul_lo_u32 v10, v7, v10
	v_mul_hi_u32 v14, v7, v8
	v_add_co_u32_e32 v9, vcc, v9, v11
	v_addc_co_u32_e32 v11, vcc, 0, v13, vcc
	v_mul_lo_u32 v8, v7, v8
	v_add_co_u32_e32 v9, vcc, v9, v10
	v_addc_co_u32_e32 v9, vcc, v11, v12, vcc
	v_addc_co_u32_e32 v10, vcc, 0, v14, vcc
	v_add_co_u32_e32 v8, vcc, v9, v8
	v_addc_co_u32_e32 v9, vcc, 0, v10, vcc
	v_add_co_u32_e32 v4, vcc, v4, v8
	v_addc_co_u32_e32 v7, vcc, v7, v9, vcc
	v_mul_lo_u32 v8, s0, v7
	v_mul_hi_u32 v9, s0, v4
	v_mul_lo_u32 v10, s1, v4
	v_mul_lo_u32 v11, s0, v4
	v_add_u32_e32 v8, v9, v8
	v_add_u32_e32 v8, v8, v10
	v_mul_lo_u32 v12, v4, v8
	v_mul_hi_u32 v13, v4, v11
	v_mul_hi_u32 v14, v4, v8
	;; [unrolled: 1-line block ×3, first 2 shown]
	v_mul_lo_u32 v11, v7, v11
	v_mul_hi_u32 v9, v7, v8
	v_add_co_u32_e32 v12, vcc, v13, v12
	v_addc_co_u32_e32 v13, vcc, 0, v14, vcc
	v_mul_lo_u32 v8, v7, v8
	v_add_co_u32_e32 v11, vcc, v12, v11
	v_addc_co_u32_e32 v10, vcc, v13, v10, vcc
	v_addc_co_u32_e32 v9, vcc, 0, v9, vcc
	v_add_co_u32_e32 v8, vcc, v10, v8
	v_addc_co_u32_e32 v9, vcc, 0, v9, vcc
	v_add_co_u32_e32 v4, vcc, v4, v8
	v_addc_co_u32_e32 v9, vcc, v7, v9, vcc
	v_mad_u64_u32 v[7:8], s[0:1], v5, v9, 0
	v_mul_hi_u32 v10, v5, v4
	v_add_co_u32_e32 v11, vcc, v10, v7
	v_addc_co_u32_e32 v12, vcc, 0, v8, vcc
	v_mad_u64_u32 v[7:8], s[0:1], v6, v4, 0
	v_mad_u64_u32 v[9:10], s[0:1], v6, v9, 0
	v_add_co_u32_e32 v4, vcc, v11, v7
	v_addc_co_u32_e32 v4, vcc, v12, v8, vcc
	v_addc_co_u32_e32 v7, vcc, 0, v10, vcc
	v_add_co_u32_e32 v4, vcc, v4, v9
	v_addc_co_u32_e32 v9, vcc, 0, v7, vcc
	v_mul_lo_u32 v10, s19, v4
	v_mul_lo_u32 v11, s18, v9
	v_mad_u64_u32 v[7:8], s[0:1], s18, v4, 0
	v_add3_u32 v8, v8, v11, v10
	v_sub_u32_e32 v10, v6, v8
	v_mov_b32_e32 v11, s19
	v_sub_co_u32_e32 v7, vcc, v5, v7
	v_subb_co_u32_e64 v10, s[0:1], v10, v11, vcc
	v_subrev_co_u32_e64 v11, s[0:1], s18, v7
	v_subbrev_co_u32_e64 v10, s[0:1], 0, v10, s[0:1]
	v_cmp_le_u32_e64 s[0:1], s19, v10
	v_cndmask_b32_e64 v12, 0, -1, s[0:1]
	v_cmp_le_u32_e64 s[0:1], s18, v11
	v_cndmask_b32_e64 v11, 0, -1, s[0:1]
	v_cmp_eq_u32_e64 s[0:1], s19, v10
	v_cndmask_b32_e64 v10, v12, v11, s[0:1]
	v_add_co_u32_e64 v11, s[0:1], 2, v4
	v_addc_co_u32_e64 v12, s[0:1], 0, v9, s[0:1]
	v_add_co_u32_e64 v13, s[0:1], 1, v4
	v_addc_co_u32_e64 v14, s[0:1], 0, v9, s[0:1]
	v_subb_co_u32_e32 v8, vcc, v6, v8, vcc
	v_cmp_ne_u32_e64 s[0:1], 0, v10
	v_cmp_le_u32_e32 vcc, s19, v8
	v_cndmask_b32_e64 v10, v14, v12, s[0:1]
	v_cndmask_b32_e64 v12, 0, -1, vcc
	v_cmp_le_u32_e32 vcc, s18, v7
	v_cndmask_b32_e64 v7, 0, -1, vcc
	v_cmp_eq_u32_e32 vcc, s19, v8
	v_cndmask_b32_e32 v7, v12, v7, vcc
	v_cmp_ne_u32_e32 vcc, 0, v7
	v_cndmask_b32_e64 v7, v13, v11, s[0:1]
	v_cndmask_b32_e32 v8, v9, v10, vcc
	v_cndmask_b32_e32 v7, v4, v7, vcc
.LBB0_4:                                ;   in Loop: Header=BB0_2 Depth=1
	s_andn2_saveexec_b64 s[0:1], s[20:21]
	s_cbranch_execz .LBB0_6
; %bb.5:                                ;   in Loop: Header=BB0_2 Depth=1
	v_cvt_f32_u32_e32 v4, s18
	s_sub_i32 s20, 0, s18
	v_rcp_iflag_f32_e32 v4, v4
	v_mul_f32_e32 v4, 0x4f7ffffe, v4
	v_cvt_u32_f32_e32 v4, v4
	v_mul_lo_u32 v7, s20, v4
	v_mul_hi_u32 v7, v4, v7
	v_add_u32_e32 v4, v4, v7
	v_mul_hi_u32 v4, v5, v4
	v_mul_lo_u32 v7, v4, s18
	v_add_u32_e32 v8, 1, v4
	v_sub_u32_e32 v7, v5, v7
	v_subrev_u32_e32 v9, s18, v7
	v_cmp_le_u32_e32 vcc, s18, v7
	v_cndmask_b32_e32 v7, v7, v9, vcc
	v_cndmask_b32_e32 v4, v4, v8, vcc
	v_add_u32_e32 v8, 1, v4
	v_cmp_le_u32_e32 vcc, s18, v7
	v_cndmask_b32_e32 v7, v4, v8, vcc
	v_mov_b32_e32 v8, v3
.LBB0_6:                                ;   in Loop: Header=BB0_2 Depth=1
	s_or_b64 exec, exec, s[0:1]
	v_mul_lo_u32 v4, v8, s18
	v_mul_lo_u32 v11, v7, s19
	v_mad_u64_u32 v[9:10], s[0:1], v7, s18, 0
	s_load_dwordx2 s[0:1], s[6:7], 0x0
	s_add_u32 s16, s16, 1
	v_add3_u32 v4, v10, v11, v4
	v_sub_co_u32_e32 v5, vcc, v5, v9
	v_subb_co_u32_e32 v4, vcc, v6, v4, vcc
	s_waitcnt lgkmcnt(0)
	v_mul_lo_u32 v4, s0, v4
	v_mul_lo_u32 v6, s1, v5
	v_mad_u64_u32 v[1:2], s[0:1], s0, v5, v[1:2]
	s_addc_u32 s17, s17, 0
	s_add_u32 s6, s6, 8
	v_add3_u32 v2, v6, v2, v4
	v_mov_b32_e32 v4, s10
	v_mov_b32_e32 v5, s11
	s_addc_u32 s7, s7, 0
	v_cmp_ge_u64_e32 vcc, s[16:17], v[4:5]
	s_add_u32 s14, s14, 8
	s_addc_u32 s15, s15, 0
	s_cbranch_vccnz .LBB0_9
; %bb.7:                                ;   in Loop: Header=BB0_2 Depth=1
	v_mov_b32_e32 v5, v7
	v_mov_b32_e32 v6, v8
	s_branch .LBB0_2
.LBB0_8:
	v_mov_b32_e32 v8, v6
	v_mov_b32_e32 v7, v5
.LBB0_9:
	s_lshl_b64 s[0:1], s[10:11], 3
	s_add_u32 s0, s12, s0
	s_addc_u32 s1, s13, s1
	s_load_dwordx2 s[6:7], s[0:1], 0x0
	s_load_dwordx2 s[10:11], s[4:5], 0x20
	s_waitcnt lgkmcnt(0)
	v_mad_u64_u32 v[1:2], s[0:1], s6, v7, v[1:2]
	s_mov_b32 s0, 0x10624de
	v_mul_lo_u32 v3, s6, v8
	v_mul_lo_u32 v4, s7, v7
	v_mul_hi_u32 v5, v0, s0
	v_cmp_gt_u64_e32 vcc, s[10:11], v[7:8]
	v_add3_u32 v2, v4, v2, v3
	v_mul_u32_u24_e32 v3, 0xfa, v5
	v_sub_u32_e32 v0, v0, v3
	v_lshlrev_b64 v[2:3], 2, v[1:2]
	v_lshl_add_u32 v8, v0, 2, 0
	s_and_saveexec_b64 s[4:5], vcc
	s_cbranch_execz .LBB0_11
; %bb.10:
	v_mov_b32_e32 v1, 0
	v_mov_b32_e32 v4, s3
	v_add_co_u32_e64 v6, s[0:1], s2, v2
	v_addc_co_u32_e64 v7, s[0:1], v4, v3, s[0:1]
	v_lshlrev_b64 v[4:5], 2, v[0:1]
	v_add_co_u32_e64 v4, s[0:1], v6, v4
	v_addc_co_u32_e64 v5, s[0:1], v7, v5, s[0:1]
	global_load_dword v1, v[4:5], off
	global_load_dword v6, v[4:5], off offset:1000
	global_load_dword v7, v[4:5], off offset:2000
	s_waitcnt vmcnt(1)
	ds_write2_b32 v8, v1, v6 offset1:250
	s_waitcnt vmcnt(0)
	ds_write_b32 v8, v7 offset:2000
.LBB0_11:
	s_or_b64 exec, exec, s[4:5]
	v_add_u32_e32 v1, 0x400, v8
	s_waitcnt lgkmcnt(0)
	s_barrier
	ds_read2_b32 v[4:5], v1 offset0:44 offset1:119
	v_add_u32_e32 v1, 0x600, v8
	ds_read2_b32 v[6:7], v1 offset0:66 offset1:141
	ds_read2_b32 v[9:10], v8 offset0:150 offset1:225
	ds_read2_b32 v[12:13], v8 offset1:75
	s_mov_b32 s0, 0xbb9c
	s_movk_i32 s5, 0x3b9c
	s_waitcnt lgkmcnt(2)
	v_add_f16_e32 v1, v4, v6
	v_sub_f16_sdwa v17, v4, v6 dst_sel:DWORD dst_unused:UNUSED_PAD src0_sel:WORD_1 src1_sel:WORD_1
	s_waitcnt lgkmcnt(0)
	v_pk_add_f16 v14, v13, v10
	v_pk_add_f16 v22, v14, v5
	v_add_u32_e32 v14, 0x800, v8
	ds_read2_b32 v[14:15], v14 offset0:88 offset1:163
	v_pk_add_f16 v11, v12, v9
	v_pk_add_f16 v11, v11, v4
	;; [unrolled: 1-line block ×4, first 2 shown]
	s_waitcnt lgkmcnt(0)
	v_sub_f16_sdwa v30, v9, v14 dst_sel:DWORD dst_unused:UNUSED_PAD src0_sel:WORD_1 src1_sel:WORD_1
	v_fma_f16 v1, v1, -0.5, v12
	v_sub_f16_e32 v16, v9, v4
	v_sub_f16_e32 v18, v4, v9
	v_add_f16_sdwa v19, v4, v6 dst_sel:DWORD dst_unused:UNUSED_PAD src0_sel:WORD_1 src1_sel:WORD_1
	v_sub_f16_e32 v21, v4, v6
	v_sub_f16_sdwa v20, v9, v4 dst_sel:DWORD dst_unused:UNUSED_PAD src0_sel:WORD_1 src1_sel:WORD_1
	v_sub_f16_sdwa v4, v4, v9 dst_sel:DWORD dst_unused:UNUSED_PAD src0_sel:WORD_1 src1_sel:WORD_1
	v_add_f16_e32 v23, v5, v7
	v_sub_f16_sdwa v24, v5, v7 dst_sel:DWORD dst_unused:UNUSED_PAD src0_sel:WORD_1 src1_sel:WORD_1
	v_sub_f16_e32 v25, v10, v5
	v_sub_f16_e32 v26, v5, v10
	v_add_f16_sdwa v27, v5, v7 dst_sel:DWORD dst_unused:UNUSED_PAD src0_sel:WORD_1 src1_sel:WORD_1
	v_sub_f16_e32 v28, v5, v7
	v_sub_f16_sdwa v29, v10, v5 dst_sel:DWORD dst_unused:UNUSED_PAD src0_sel:WORD_1 src1_sel:WORD_1
	v_sub_f16_sdwa v5, v5, v10 dst_sel:DWORD dst_unused:UNUSED_PAD src0_sel:WORD_1 src1_sel:WORD_1
	v_add_f16_e32 v31, v9, v14
	v_sub_f16_e32 v32, v9, v14
	v_add_f16_sdwa v9, v9, v14 dst_sel:DWORD dst_unused:UNUSED_PAD src0_sel:WORD_1 src1_sel:WORD_1
	v_sub_f16_sdwa v33, v10, v15 dst_sel:DWORD dst_unused:UNUSED_PAD src0_sel:WORD_1 src1_sel:WORD_1
	v_add_f16_e32 v34, v10, v15
	v_sub_f16_e32 v35, v10, v15
	v_add_f16_sdwa v10, v10, v15 dst_sel:DWORD dst_unused:UNUSED_PAD src0_sel:WORD_1 src1_sel:WORD_1
	v_sub_f16_e32 v36, v14, v6
	v_sub_f16_e32 v37, v6, v14
	v_sub_f16_sdwa v38, v14, v6 dst_sel:DWORD dst_unused:UNUSED_PAD src0_sel:WORD_1 src1_sel:WORD_1
	v_sub_f16_sdwa v6, v6, v14 dst_sel:DWORD dst_unused:UNUSED_PAD src0_sel:WORD_1 src1_sel:WORD_1
	v_sub_f16_e32 v39, v15, v7
	v_sub_f16_e32 v40, v7, v15
	v_sub_f16_sdwa v41, v15, v7 dst_sel:DWORD dst_unused:UNUSED_PAD src0_sel:WORD_1 src1_sel:WORD_1
	v_sub_f16_sdwa v7, v7, v15 dst_sel:DWORD dst_unused:UNUSED_PAD src0_sel:WORD_1 src1_sel:WORD_1
	v_pk_add_f16 v11, v11, v14
	v_pk_add_f16 v14, v22, v15
	s_mov_b32 s1, 0xb8b4
	v_fma_f16 v15, v30, s0, v1
	v_fma_f16 v1, v30, s5, v1
	s_movk_i32 s6, 0x38b4
	v_add_f16_e32 v16, v16, v36
	v_fma_f16 v15, v17, s1, v15
	s_movk_i32 s4, 0x34f2
	v_fma_f16 v1, v17, s6, v1
	v_fma_f16 v15, v16, s4, v15
	;; [unrolled: 1-line block ×3, first 2 shown]
	v_add_f16_e32 v1, v18, v37
	v_fma_f16 v18, v31, -0.5, v12
	v_fma_f16 v22, v17, s5, v18
	v_fma_f16 v17, v17, s0, v18
	;; [unrolled: 1-line block ×4, first 2 shown]
	v_lshrrev_b32_e32 v12, 16, v12
	v_fma_f16 v17, v1, s4, v18
	v_fma_f16 v18, v1, s4, v22
	v_add_f16_e32 v1, v20, v38
	v_fma_f16 v20, v19, -0.5, v12
	v_fma_f16 v19, v32, s5, v20
	v_fma_f16 v20, v32, s0, v20
	;; [unrolled: 1-line block ×6, first 2 shown]
	v_fma_f16 v1, v9, -0.5, v12
	v_add_f16_e32 v4, v4, v6
	v_fma_f16 v6, v21, s0, v1
	v_fma_f16 v1, v21, s5, v1
	;; [unrolled: 1-line block ×6, first 2 shown]
	v_fma_f16 v4, v23, -0.5, v13
	v_fma_f16 v6, v33, s0, v4
	v_fma_f16 v4, v33, s5, v4
	v_fma_f16 v9, v34, -0.5, v13
	v_add_f16_e32 v1, v25, v39
	v_fma_f16 v6, v24, s1, v6
	v_fma_f16 v4, v24, s6, v4
	v_fma_f16 v12, v24, s5, v9
	v_fma_f16 v9, v24, s0, v9
	v_fma_f16 v6, v1, s4, v6
	v_fma_f16 v1, v1, s4, v4
	v_add_f16_e32 v4, v26, v40
	v_fma_f16 v12, v33, s1, v12
	v_fma_f16 v9, v33, s6, v9
	;; [unrolled: 1-line block ×4, first 2 shown]
	v_lshrrev_b32_e32 v9, 16, v13
	v_fma_f16 v23, v27, -0.5, v9
	v_fma_f16 v24, v35, s5, v23
	v_fma_f16 v9, v10, -0.5, v9
	v_add_f16_e32 v13, v29, v41
	v_fma_f16 v24, v28, s6, v24
	v_add_f16_e32 v5, v5, v7
	v_fma_f16 v7, v28, s0, v9
	v_fma_f16 v9, v28, s5, v9
	;; [unrolled: 1-line block ×9, first 2 shown]
	s_movk_i32 s0, 0x3a79
	v_mul_f16_e32 v9, 0xb8b4, v24
	v_fma_f16 v13, v13, s4, v23
	v_fma_f16 v23, v6, s0, v9
	v_mul_f16_e32 v6, 0x38b4, v6
	v_fma_f16 v25, v24, s0, v6
	v_mul_f16_e32 v6, 0xbb9c, v7
	;; [unrolled: 2-line block ×3, first 2 shown]
	v_fma_f16 v27, v12, s5, v6
	s_mov_b32 s0, 0xb4f2
	v_mul_f16_e32 v6, 0xbb9c, v5
	v_mul_f16_e32 v5, 0xb4f2, v5
	v_fma_f16 v26, v4, s0, v6
	v_fma_f16 v29, v4, s5, v5
	s_mov_b32 s0, 0xba79
	v_mul_f16_e32 v4, 0xb8b4, v13
	v_fma_f16 v28, v1, s0, v4
	v_mul_f16_e32 v4, 0xba79, v13
	v_fma_f16 v30, v1, s6, v4
	s_movk_i32 s0, 0x4b
	v_add_f16_e32 v6, v17, v24
	v_add_f16_e32 v7, v18, v26
	;; [unrolled: 1-line block ×3, first 2 shown]
	v_pk_add_f16 v4, v11, v14
	v_cmp_gt_u32_e64 s[0:1], s0, v0
	v_add_f16_e32 v1, v16, v28
	v_add_f16_e32 v9, v19, v25
	v_add_f16_e32 v10, v21, v27
	v_add_f16_e32 v12, v22, v29
	v_add_f16_e32 v13, v20, v30
	s_barrier
	s_and_saveexec_b64 s[4:5], s[0:1]
	s_cbranch_execz .LBB0_13
; %bb.12:
	s_mov_b32 s0, 0x5040100
	v_sub_f16_e32 v21, v21, v27
	v_sub_f16_e32 v19, v19, v25
	;; [unrolled: 1-line block ×4, first 2 shown]
	v_mad_u32_u24 v23, v0, 36, v8
	v_pk_add_f16 v11, v11, v14 neg_lo:[0,1] neg_hi:[0,1]
	v_perm_b32 v14, v13, v1, s0
	v_sub_f16_e32 v20, v20, v30
	v_sub_f16_e32 v22, v22, v29
	;; [unrolled: 1-line block ×4, first 2 shown]
	v_perm_b32 v24, v9, v5, s0
	ds_write2_b32 v23, v14, v11 offset0:4 offset1:5
	v_pack_b32_f16 v11, v17, v21
	v_pack_b32_f16 v14, v15, v19
	ds_write2_b32 v23, v4, v24 offset1:1
	v_perm_b32 v24, v12, v7, s0
	v_perm_b32 v25, v10, v6, s0
	ds_write2_b32 v23, v14, v11 offset0:6 offset1:7
	v_pack_b32_f16 v11, v16, v20
	v_pack_b32_f16 v14, v18, v22
	ds_write2_b32 v23, v25, v24 offset0:2 offset1:3
	ds_write2_b32 v23, v14, v11 offset0:8 offset1:9
.LBB0_13:
	s_or_b64 exec, exec, s[4:5]
	s_movk_i32 s0, 0x96
	v_cmp_gt_u32_e64 s[0:1], s0, v0
	v_lshrrev_b32_e32 v11, 16, v4
	s_waitcnt lgkmcnt(0)
	s_barrier
	s_and_saveexec_b64 s[4:5], s[0:1]
	s_cbranch_execz .LBB0_15
; %bb.14:
	ds_read2_b32 v[4:5], v8 offset1:150
	v_add_u32_e32 v1, 0x400, v8
	ds_read2_b32 v[6:7], v1 offset0:44 offset1:194
	ds_read_b32 v1, v8 offset:2400
	ds_read_u16 v11, v8 offset:2
	s_waitcnt lgkmcnt(2)
	v_lshrrev_b32_e32 v10, 16, v6
	v_lshrrev_b32_e32 v9, 16, v5
	;; [unrolled: 1-line block ×3, first 2 shown]
	s_waitcnt lgkmcnt(1)
	v_lshrrev_b32_e32 v13, 16, v1
.LBB0_15:
	s_or_b64 exec, exec, s[4:5]
	s_movk_i32 s4, 0xcd
	v_mul_lo_u16_sdwa v14, v0, s4 dst_sel:DWORD dst_unused:UNUSED_PAD src0_sel:BYTE_0 src1_sel:DWORD
	v_lshrrev_b16_e32 v14, 11, v14
	v_mul_lo_u16_e32 v15, 10, v14
	v_sub_u16_e32 v15, v0, v15
	v_mov_b32_e32 v16, 4
	v_lshlrev_b32_sdwa v16, v16, v15 dst_sel:DWORD dst_unused:UNUSED_PAD src0_sel:DWORD src1_sel:BYTE_0
	global_load_dwordx4 v[17:20], v16, s[8:9]
	s_movk_i32 s4, 0x3b9c
	s_mov_b32 s7, 0xbb9c
	s_movk_i32 s5, 0x38b4
	s_mov_b32 s10, 0xb8b4
	s_movk_i32 s6, 0x34f2
	s_waitcnt vmcnt(0) lgkmcnt(0)
	s_barrier
	v_mul_f16_sdwa v16, v9, v17 dst_sel:DWORD dst_unused:UNUSED_PAD src0_sel:DWORD src1_sel:WORD_1
	v_mul_f16_sdwa v21, v5, v17 dst_sel:DWORD dst_unused:UNUSED_PAD src0_sel:DWORD src1_sel:WORD_1
	;; [unrolled: 1-line block ×8, first 2 shown]
	v_fma_f16 v16, v5, v17, v16
	v_fma_f16 v17, v9, v17, -v21
	v_fma_f16 v6, v6, v18, v22
	v_fma_f16 v18, v10, v18, -v23
	;; [unrolled: 2-line block ×4, first 2 shown]
	v_add_f16_e32 v1, v6, v7
	v_add_f16_e32 v10, v16, v12
	v_sub_f16_e32 v26, v6, v16
	v_sub_f16_e32 v27, v7, v12
	v_add_f16_e32 v28, v18, v19
	v_add_f16_e32 v33, v17, v13
	v_sub_f16_e32 v22, v17, v13
	v_sub_f16_e32 v23, v18, v19
	;; [unrolled: 1-line block ×6, first 2 shown]
	v_fma_f16 v20, v1, -0.5, v4
	v_fma_f16 v21, v10, -0.5, v4
	v_add_f16_e32 v30, v26, v27
	v_fma_f16 v26, v28, -0.5, v11
	v_fma_f16 v27, v33, -0.5, v11
	v_sub_f16_e32 v29, v17, v18
	v_sub_f16_e32 v32, v13, v19
	;; [unrolled: 1-line block ×4, first 2 shown]
	v_add_f16_e32 v31, v5, v9
	v_fma_f16 v1, v22, s4, v20
	v_fma_f16 v5, v23, s7, v21
	;; [unrolled: 1-line block ×4, first 2 shown]
	v_add_f16_e32 v29, v29, v32
	v_add_f16_e32 v28, v34, v35
	v_fma_f16 v1, v23, s5, v1
	v_fma_f16 v5, v22, s5, v5
	;; [unrolled: 1-line block ×8, first 2 shown]
	s_and_saveexec_b64 s[4:5], s[0:1]
	s_cbranch_execz .LBB0_17
; %bb.16:
	v_mul_f16_e32 v35, 0x38b4, v25
	v_mul_f16_e32 v25, 0x3b9c, v25
	v_add_f16_e32 v11, v11, v17
	v_mul_f16_e32 v32, 0x3b9c, v22
	v_mul_f16_e32 v34, 0x3b9c, v24
	;; [unrolled: 1-line block ×3, first 2 shown]
	v_sub_f16_e32 v25, v27, v25
	v_add_f16_e32 v11, v11, v18
	v_add_f16_e32 v4, v4, v16
	v_mul_f16_e32 v33, 0x38b4, v23
	v_mul_f16_e32 v23, 0x3b9c, v23
	v_add_f16_e32 v24, v24, v25
	v_add_f16_e32 v25, v26, v34
	;; [unrolled: 1-line block ×3, first 2 shown]
	v_sub_f16_e32 v17, v20, v32
	v_add_f16_e32 v4, v4, v6
	v_mul_f16_e32 v31, 0x34f2, v31
	v_mul_f16_e32 v22, 0x38b4, v22
	;; [unrolled: 1-line block ×3, first 2 shown]
	v_add_f16_e32 v25, v35, v25
	v_add_f16_e32 v11, v11, v13
	;; [unrolled: 1-line block ×3, first 2 shown]
	v_sub_f16_e32 v17, v17, v33
	v_add_f16_e32 v4, v4, v7
	v_mov_b32_e32 v7, 2
	v_mul_f16_e32 v30, 0x34f2, v30
	v_mul_f16_e32 v28, 0x34f2, v28
	v_add_f16_e32 v25, v29, v25
	v_sub_f16_e32 v13, v13, v22
	v_add_f16_e32 v17, v31, v17
	v_add_f16_e32 v4, v4, v12
	v_mul_u32_u24_e32 v6, 0xc8, v14
	v_lshlrev_b32_sdwa v7, v7, v15 dst_sel:DWORD dst_unused:UNUSED_PAD src0_sel:DWORD src1_sel:BYTE_0
	v_add_f16_e32 v24, v28, v24
	v_add_f16_e32 v13, v30, v13
	v_add3_u32 v6, 0, v6, v7
	v_pack_b32_f16 v4, v4, v11
	v_pack_b32_f16 v7, v17, v25
	s_mov_b32 s6, 0x5040100
	ds_write2_b32 v6, v4, v7 offset1:10
	v_pack_b32_f16 v4, v13, v24
	v_perm_b32 v7, v9, v5, s6
	ds_write2_b32 v6, v4, v7 offset0:20 offset1:30
	v_perm_b32 v4, v10, v1, s6
	ds_write_b32 v6, v4 offset:160
.LBB0_17:
	s_or_b64 exec, exec, s[4:5]
	v_mov_b32_e32 v4, 41
	v_mul_lo_u16_sdwa v4, v0, v4 dst_sel:DWORD dst_unused:UNUSED_PAD src0_sel:BYTE_0 src1_sel:DWORD
	v_lshrrev_b16_e32 v4, 11, v4
	v_mul_lo_u16_e32 v6, 50, v4
	v_sub_u16_e32 v13, v0, v6
	v_mov_b32_e32 v6, 3
	v_lshlrev_b32_sdwa v6, v6, v13 dst_sel:DWORD dst_unused:UNUSED_PAD src0_sel:DWORD src1_sel:BYTE_0
	s_waitcnt lgkmcnt(0)
	s_barrier
	global_load_dwordx2 v[6:7], v6, s[8:9] offset:160
	ds_read2_b32 v[11:12], v8 offset1:250
	ds_read_b32 v14, v8 offset:2000
	v_mov_b32_e32 v15, 2
	v_mul_u32_u24_e32 v4, 0x258, v4
	v_lshlrev_b32_sdwa v13, v15, v13 dst_sel:DWORD dst_unused:UNUSED_PAD src0_sel:DWORD src1_sel:BYTE_0
	s_waitcnt lgkmcnt(1)
	v_lshrrev_b32_e32 v16, 16, v12
	s_waitcnt lgkmcnt(0)
	v_lshrrev_b32_e32 v17, 16, v14
	v_add3_u32 v15, 0, v4, v13
	v_lshrrev_b32_e32 v18, 16, v11
	s_mov_b32 s4, 0xbaee
	s_movk_i32 s5, 0x3aee
	s_waitcnt vmcnt(0)
	s_barrier
	v_mul_f16_sdwa v4, v6, v16 dst_sel:DWORD dst_unused:UNUSED_PAD src0_sel:WORD_1 src1_sel:DWORD
	v_mul_f16_sdwa v13, v6, v12 dst_sel:DWORD dst_unused:UNUSED_PAD src0_sel:WORD_1 src1_sel:DWORD
	;; [unrolled: 1-line block ×4, first 2 shown]
	v_fma_f16 v4, v6, v12, v4
	v_fma_f16 v6, v6, v16, -v13
	v_fma_f16 v12, v7, v14, v19
	v_fma_f16 v7, v7, v17, -v20
	v_add_f16_e32 v13, v4, v11
	v_add_f16_e32 v14, v4, v12
	;; [unrolled: 1-line block ×3, first 2 shown]
	v_sub_f16_e32 v16, v6, v7
	v_add_f16_e32 v17, v6, v18
	v_sub_f16_e32 v20, v4, v12
	v_add_f16_e32 v6, v13, v12
	v_fma_f16 v4, v14, -0.5, v11
	v_fma_f16 v12, v19, -0.5, v18
	v_add_f16_e32 v11, v17, v7
	v_fma_f16 v7, v16, s4, v4
	v_fma_f16 v13, v20, s5, v12
	;; [unrolled: 1-line block ×4, first 2 shown]
	v_pack_b32_f16 v12, v6, v11
	v_pack_b32_f16 v16, v7, v13
	;; [unrolled: 1-line block ×3, first 2 shown]
	ds_write2_b32 v15, v12, v16 offset1:50
	ds_write_b32 v15, v17 offset:400
	s_waitcnt lgkmcnt(0)
	s_barrier
	s_and_saveexec_b64 s[4:5], s[0:1]
	s_cbranch_execz .LBB0_19
; %bb.18:
	v_add_u32_e32 v1, 0x400, v8
	ds_read2_b32 v[6:7], v8 offset1:150
	ds_read2_b32 v[4:5], v1 offset0:44 offset1:194
	ds_read_b32 v1, v8 offset:2400
	s_waitcnt lgkmcnt(2)
	v_lshrrev_b32_e32 v13, 16, v7
	s_waitcnt lgkmcnt(1)
	v_lshrrev_b32_e32 v14, 16, v4
	v_lshrrev_b32_e32 v9, 16, v5
	s_waitcnt lgkmcnt(0)
	v_lshrrev_b32_e32 v10, 16, v1
	v_lshrrev_b32_e32 v11, 16, v6
.LBB0_19:
	s_or_b64 exec, exec, s[4:5]
	v_lshlrev_b32_e32 v12, 2, v0
	s_barrier
	s_and_saveexec_b64 s[4:5], s[0:1]
	s_cbranch_execz .LBB0_21
; %bb.20:
	v_add_u32_e32 v15, 0xfffffda8, v12
	v_cndmask_b32_e64 v15, v15, v12, s[0:1]
	v_mov_b32_e32 v16, 0
	v_lshlrev_b64 v[15:16], 2, v[15:16]
	v_mov_b32_e32 v17, s9
	v_add_co_u32_e64 v15, s[0:1], s8, v15
	v_addc_co_u32_e64 v16, s[0:1], v17, v16, s[0:1]
	global_load_dwordx4 v[15:18], v[15:16], off offset:560
	s_movk_i32 s0, 0x3b9c
	s_mov_b32 s1, 0xb8b4
	s_movk_i32 s10, 0x38b4
	s_movk_i32 s6, 0x34f2
	v_add_u32_e32 v19, 0x400, v8
	s_waitcnt vmcnt(0)
	v_mul_f16_sdwa v20, v4, v16 dst_sel:DWORD dst_unused:UNUSED_PAD src0_sel:DWORD src1_sel:WORD_1
	v_mul_f16_sdwa v21, v7, v15 dst_sel:DWORD dst_unused:UNUSED_PAD src0_sel:DWORD src1_sel:WORD_1
	;; [unrolled: 1-line block ×8, first 2 shown]
	v_fma_f16 v14, v14, v16, -v20
	v_fma_f16 v13, v13, v15, -v21
	;; [unrolled: 1-line block ×4, first 2 shown]
	v_fma_f16 v4, v4, v16, v24
	v_fma_f16 v5, v5, v17, v25
	;; [unrolled: 1-line block ×4, first 2 shown]
	v_sub_f16_e32 v15, v14, v13
	v_sub_f16_e32 v16, v9, v10
	v_add_f16_e32 v18, v13, v10
	v_sub_f16_e32 v21, v13, v14
	v_sub_f16_e32 v22, v10, v9
	v_add_f16_e32 v23, v14, v9
	v_add_f16_e32 v27, v7, v1
	;; [unrolled: 1-line block ×3, first 2 shown]
	v_sub_f16_e32 v20, v7, v1
	v_add_f16_e32 v24, v11, v13
	v_sub_f16_e32 v25, v4, v7
	v_sub_f16_e32 v26, v5, v1
	;; [unrolled: 1-line block ×4, first 2 shown]
	v_add_f16_e32 v7, v6, v7
	v_add_f16_e32 v15, v15, v16
	v_fma_f16 v16, v18, -0.5, v11
	v_add_f16_e32 v18, v21, v22
	v_fma_f16 v11, v23, -0.5, v11
	v_fma_f16 v22, v27, -0.5, v6
	;; [unrolled: 1-line block ×3, first 2 shown]
	v_sub_f16_e32 v17, v4, v5
	v_sub_f16_e32 v28, v14, v9
	;; [unrolled: 1-line block ×3, first 2 shown]
	v_add_f16_e32 v14, v24, v14
	v_add_f16_e32 v21, v25, v26
	;; [unrolled: 1-line block ×3, first 2 shown]
	v_fma_f16 v24, v20, s7, v11
	v_fma_f16 v11, v20, s0, v11
	;; [unrolled: 1-line block ×4, first 2 shown]
	v_add_f16_e32 v23, v29, v30
	v_fma_f16 v7, v17, s0, v16
	v_fma_f16 v16, v17, s7, v16
	v_add_f16_e32 v9, v14, v9
	v_fma_f16 v14, v28, s7, v22
	v_fma_f16 v22, v28, s0, v22
	;; [unrolled: 3-line block ×3, first 2 shown]
	v_fma_f16 v5, v20, s1, v7
	v_fma_f16 v7, v20, s10, v16
	;; [unrolled: 1-line block ×3, first 2 shown]
	v_add_f16_e32 v9, v9, v10
	v_fma_f16 v10, v13, s10, v14
	v_fma_f16 v13, v13, s1, v22
	;; [unrolled: 1-line block ×3, first 2 shown]
	v_add_f16_e32 v1, v4, v1
	v_fma_f16 v11, v18, s6, v11
	v_fma_f16 v6, v23, s6, v6
	;; [unrolled: 1-line block ×8, first 2 shown]
	v_pack_b32_f16 v1, v1, v9
	v_pack_b32_f16 v6, v6, v11
	v_pack_b32_f16 v5, v13, v5
	v_pack_b32_f16 v4, v10, v4
	ds_write2_b32 v8, v1, v6 offset1:150
	ds_write2_b32 v19, v5, v4 offset0:44 offset1:194
	v_pack_b32_f16 v1, v14, v7
	ds_write_b32 v8, v1 offset:2400
.LBB0_21:
	s_or_b64 exec, exec, s[4:5]
	s_waitcnt lgkmcnt(0)
	s_barrier
	ds_read_b32 v5, v8
	v_sub_u32_e32 v4, 0, v12
	v_cmp_ne_u32_e64 s[0:1], 0, v0
                                        ; implicit-def: $vgpr6
                                        ; implicit-def: $vgpr1
	s_and_saveexec_b64 s[4:5], s[0:1]
	s_xor_b64 s[4:5], exec, s[4:5]
	s_cbranch_execz .LBB0_23
; %bb.22:
	v_mov_b32_e32 v1, 0
	v_lshlrev_b64 v[6:7], 2, v[0:1]
	v_mov_b32_e32 v1, s9
	v_add_co_u32_e64 v6, s[0:1], s8, v6
	v_addc_co_u32_e64 v7, s[0:1], v1, v7, s[0:1]
	global_load_dword v6, v[6:7], off offset:2960
	ds_read_b32 v1, v4 offset:3000
	s_waitcnt lgkmcnt(0)
	v_add_f16_e32 v7, v1, v5
	v_add_f16_sdwa v9, v1, v5 dst_sel:DWORD dst_unused:UNUSED_PAD src0_sel:WORD_1 src1_sel:WORD_1
	v_sub_f16_e32 v10, v5, v1
	v_sub_f16_sdwa v1, v5, v1 dst_sel:DWORD dst_unused:UNUSED_PAD src0_sel:WORD_1 src1_sel:WORD_1
	v_mul_f16_e32 v5, 0.5, v9
	v_mul_f16_e32 v9, 0.5, v10
	v_mul_f16_e32 v1, 0.5, v1
	s_waitcnt vmcnt(0)
	v_lshrrev_b32_e32 v10, 16, v6
	v_mul_f16_e32 v11, v10, v9
	v_fma_f16 v12, v5, v10, v1
	v_fma_f16 v1, v5, v10, -v1
	v_fma_f16 v10, v7, 0.5, v11
	v_fma_f16 v12, -v6, v9, v12
	v_fma_f16 v7, v7, 0.5, -v11
	v_fma_f16 v9, -v6, v9, v1
	v_fma_f16 v1, v6, v5, v10
	ds_write_b16 v8, v12 offset:2
	v_fma_f16 v6, -v6, v5, v7
	ds_write_b16 v4, v9 offset:3002
                                        ; implicit-def: $vgpr5
.LBB0_23:
	s_andn2_saveexec_b64 s[0:1], s[4:5]
	s_cbranch_execz .LBB0_25
; %bb.24:
	v_mov_b32_e32 v7, 0
	ds_write_b16 v8, v7 offset:2
	ds_write_b16 v4, v7 offset:3002
	ds_read_u16 v9, v7 offset:1502
	s_waitcnt lgkmcnt(3)
	v_add_f16_sdwa v1, v5, v5 dst_sel:DWORD dst_unused:UNUSED_PAD src0_sel:WORD_1 src1_sel:DWORD
	v_sub_f16_sdwa v6, v5, v5 dst_sel:DWORD dst_unused:UNUSED_PAD src0_sel:DWORD src1_sel:WORD_1
	s_waitcnt lgkmcnt(0)
	v_xor_b32_e32 v5, 0x8000, v9
	ds_write_b16 v7, v5 offset:1502
.LBB0_25:
	s_or_b64 exec, exec, s[0:1]
	s_movk_i32 s0, 0x7d
	v_cmp_gt_u32_e64 s[0:1], s0, v0
	ds_write_b16 v8, v1
	ds_write_b16 v4, v6 offset:3000
	s_and_saveexec_b64 s[4:5], s[0:1]
	s_cbranch_execz .LBB0_27
; %bb.26:
	v_mov_b32_e32 v1, 0
	s_add_u32 s0, s8, 0xb90
	s_waitcnt lgkmcnt(2)
	v_lshlrev_b64 v[5:6], 2, v[0:1]
	s_addc_u32 s1, s9, 0
	v_mov_b32_e32 v1, s1
	v_add_co_u32_e64 v5, s[0:1], s0, v5
	v_addc_co_u32_e64 v6, s[0:1], v1, v6, s[0:1]
	global_load_dword v1, v[5:6], off offset:1000
	ds_read_b32 v5, v8 offset:1000
	ds_read_b32 v6, v4 offset:2000
	s_mov_b32 s0, 0xffff
	s_waitcnt lgkmcnt(0)
	v_pk_add_f16 v7, v5, v6 neg_lo:[0,1] neg_hi:[0,1]
	v_pk_add_f16 v5, v5, v6
	v_bfi_b32 v6, s0, v7, v5
	v_bfi_b32 v5, s0, v5, v7
	v_pk_mul_f16 v6, v6, 0.5 op_sel_hi:[1,0]
	v_pk_mul_f16 v5, v5, 0.5 op_sel_hi:[1,0]
	s_waitcnt vmcnt(0)
	v_pk_fma_f16 v7, v1, v6, v5 op_sel:[1,0,0]
	v_pk_mul_f16 v9, v1, v6 op_sel_hi:[0,1]
	v_pk_fma_f16 v10, v1, v6, v5 op_sel:[1,0,0] neg_lo:[1,0,0] neg_hi:[1,0,0]
	v_pk_fma_f16 v1, v1, v6, v5 op_sel:[1,0,0] neg_lo:[0,0,1] neg_hi:[0,0,1]
	v_pk_add_f16 v5, v7, v9 op_sel:[0,1] op_sel_hi:[1,0]
	v_pk_add_f16 v6, v7, v9 op_sel:[0,1] op_sel_hi:[1,0] neg_lo:[0,1] neg_hi:[0,1]
	v_pk_add_f16 v7, v10, v9 op_sel:[0,1] op_sel_hi:[1,0] neg_lo:[0,1] neg_hi:[0,1]
	;; [unrolled: 1-line block ×3, first 2 shown]
	v_bfi_b32 v5, s0, v5, v6
	v_bfi_b32 v1, s0, v7, v1
	ds_write_b32 v8, v5 offset:1000
	ds_write_b32 v4, v1 offset:2000
.LBB0_27:
	s_or_b64 exec, exec, s[4:5]
	s_waitcnt lgkmcnt(0)
	s_barrier
	s_and_saveexec_b64 s[0:1], vcc
	s_cbranch_execz .LBB0_30
; %bb.28:
	v_mov_b32_e32 v1, 0
	v_mov_b32_e32 v6, s3
	v_add_co_u32_e32 v2, vcc, s2, v2
	ds_read2_b32 v[4:5], v8 offset1:250
	v_addc_co_u32_e32 v3, vcc, v6, v3, vcc
	v_lshlrev_b64 v[6:7], 2, v[0:1]
	ds_read_b32 v8, v8 offset:2000
	v_add_co_u32_e32 v6, vcc, v2, v6
	v_addc_co_u32_e32 v7, vcc, v3, v7, vcc
	s_movk_i32 s0, 0xf9
	v_cmp_eq_u32_e32 vcc, s0, v0
	s_waitcnt lgkmcnt(1)
	global_store_dword v[6:7], v4, off
	global_store_dword v[6:7], v5, off offset:1000
	s_waitcnt lgkmcnt(0)
	global_store_dword v[6:7], v8, off offset:2000
	s_and_b64 exec, exec, vcc
	s_cbranch_execz .LBB0_30
; %bb.29:
	ds_read_b32 v0, v1 offset:3000
	s_waitcnt lgkmcnt(0)
	global_store_dword v[2:3], v0, off offset:3000
.LBB0_30:
	s_endpgm
	.section	.rodata,"a",@progbits
	.p2align	6, 0x0
	.amdhsa_kernel fft_rtc_back_len750_factors_10_5_3_5_wgs_250_tpt_250_halfLds_half_ip_CI_unitstride_sbrr_R2C_dirReg
		.amdhsa_group_segment_fixed_size 0
		.amdhsa_private_segment_fixed_size 0
		.amdhsa_kernarg_size 88
		.amdhsa_user_sgpr_count 6
		.amdhsa_user_sgpr_private_segment_buffer 1
		.amdhsa_user_sgpr_dispatch_ptr 0
		.amdhsa_user_sgpr_queue_ptr 0
		.amdhsa_user_sgpr_kernarg_segment_ptr 1
		.amdhsa_user_sgpr_dispatch_id 0
		.amdhsa_user_sgpr_flat_scratch_init 0
		.amdhsa_user_sgpr_private_segment_size 0
		.amdhsa_uses_dynamic_stack 0
		.amdhsa_system_sgpr_private_segment_wavefront_offset 0
		.amdhsa_system_sgpr_workgroup_id_x 1
		.amdhsa_system_sgpr_workgroup_id_y 0
		.amdhsa_system_sgpr_workgroup_id_z 0
		.amdhsa_system_sgpr_workgroup_info 0
		.amdhsa_system_vgpr_workitem_id 0
		.amdhsa_next_free_vgpr 42
		.amdhsa_next_free_sgpr 22
		.amdhsa_reserve_vcc 1
		.amdhsa_reserve_flat_scratch 0
		.amdhsa_float_round_mode_32 0
		.amdhsa_float_round_mode_16_64 0
		.amdhsa_float_denorm_mode_32 3
		.amdhsa_float_denorm_mode_16_64 3
		.amdhsa_dx10_clamp 1
		.amdhsa_ieee_mode 1
		.amdhsa_fp16_overflow 0
		.amdhsa_exception_fp_ieee_invalid_op 0
		.amdhsa_exception_fp_denorm_src 0
		.amdhsa_exception_fp_ieee_div_zero 0
		.amdhsa_exception_fp_ieee_overflow 0
		.amdhsa_exception_fp_ieee_underflow 0
		.amdhsa_exception_fp_ieee_inexact 0
		.amdhsa_exception_int_div_zero 0
	.end_amdhsa_kernel
	.text
.Lfunc_end0:
	.size	fft_rtc_back_len750_factors_10_5_3_5_wgs_250_tpt_250_halfLds_half_ip_CI_unitstride_sbrr_R2C_dirReg, .Lfunc_end0-fft_rtc_back_len750_factors_10_5_3_5_wgs_250_tpt_250_halfLds_half_ip_CI_unitstride_sbrr_R2C_dirReg
                                        ; -- End function
	.section	.AMDGPU.csdata,"",@progbits
; Kernel info:
; codeLenInByte = 5016
; NumSgprs: 26
; NumVgprs: 42
; ScratchSize: 0
; MemoryBound: 0
; FloatMode: 240
; IeeeMode: 1
; LDSByteSize: 0 bytes/workgroup (compile time only)
; SGPRBlocks: 3
; VGPRBlocks: 10
; NumSGPRsForWavesPerEU: 26
; NumVGPRsForWavesPerEU: 42
; Occupancy: 5
; WaveLimiterHint : 1
; COMPUTE_PGM_RSRC2:SCRATCH_EN: 0
; COMPUTE_PGM_RSRC2:USER_SGPR: 6
; COMPUTE_PGM_RSRC2:TRAP_HANDLER: 0
; COMPUTE_PGM_RSRC2:TGID_X_EN: 1
; COMPUTE_PGM_RSRC2:TGID_Y_EN: 0
; COMPUTE_PGM_RSRC2:TGID_Z_EN: 0
; COMPUTE_PGM_RSRC2:TIDIG_COMP_CNT: 0
	.type	__hip_cuid_f5596337bfd76b6f,@object ; @__hip_cuid_f5596337bfd76b6f
	.section	.bss,"aw",@nobits
	.globl	__hip_cuid_f5596337bfd76b6f
__hip_cuid_f5596337bfd76b6f:
	.byte	0                               ; 0x0
	.size	__hip_cuid_f5596337bfd76b6f, 1

	.ident	"AMD clang version 19.0.0git (https://github.com/RadeonOpenCompute/llvm-project roc-6.4.0 25133 c7fe45cf4b819c5991fe208aaa96edf142730f1d)"
	.section	".note.GNU-stack","",@progbits
	.addrsig
	.addrsig_sym __hip_cuid_f5596337bfd76b6f
	.amdgpu_metadata
---
amdhsa.kernels:
  - .args:
      - .actual_access:  read_only
        .address_space:  global
        .offset:         0
        .size:           8
        .value_kind:     global_buffer
      - .offset:         8
        .size:           8
        .value_kind:     by_value
      - .actual_access:  read_only
        .address_space:  global
        .offset:         16
        .size:           8
        .value_kind:     global_buffer
      - .actual_access:  read_only
        .address_space:  global
        .offset:         24
        .size:           8
        .value_kind:     global_buffer
      - .offset:         32
        .size:           8
        .value_kind:     by_value
      - .actual_access:  read_only
        .address_space:  global
        .offset:         40
        .size:           8
        .value_kind:     global_buffer
      - .actual_access:  read_only
        .address_space:  global
        .offset:         48
        .size:           8
        .value_kind:     global_buffer
      - .offset:         56
        .size:           4
        .value_kind:     by_value
      - .actual_access:  read_only
        .address_space:  global
        .offset:         64
        .size:           8
        .value_kind:     global_buffer
      - .actual_access:  read_only
        .address_space:  global
        .offset:         72
        .size:           8
        .value_kind:     global_buffer
      - .address_space:  global
        .offset:         80
        .size:           8
        .value_kind:     global_buffer
    .group_segment_fixed_size: 0
    .kernarg_segment_align: 8
    .kernarg_segment_size: 88
    .language:       OpenCL C
    .language_version:
      - 2
      - 0
    .max_flat_workgroup_size: 250
    .name:           fft_rtc_back_len750_factors_10_5_3_5_wgs_250_tpt_250_halfLds_half_ip_CI_unitstride_sbrr_R2C_dirReg
    .private_segment_fixed_size: 0
    .sgpr_count:     26
    .sgpr_spill_count: 0
    .symbol:         fft_rtc_back_len750_factors_10_5_3_5_wgs_250_tpt_250_halfLds_half_ip_CI_unitstride_sbrr_R2C_dirReg.kd
    .uniform_work_group_size: 1
    .uses_dynamic_stack: false
    .vgpr_count:     42
    .vgpr_spill_count: 0
    .wavefront_size: 64
amdhsa.target:   amdgcn-amd-amdhsa--gfx906
amdhsa.version:
  - 1
  - 2
...

	.end_amdgpu_metadata
